;; amdgpu-corpus repo=ROCm/rocFFT kind=compiled arch=gfx950 opt=O3
	.text
	.amdgcn_target "amdgcn-amd-amdhsa--gfx950"
	.amdhsa_code_object_version 6
	.protected	bluestein_single_back_len324_dim1_sp_op_CI_CI ; -- Begin function bluestein_single_back_len324_dim1_sp_op_CI_CI
	.globl	bluestein_single_back_len324_dim1_sp_op_CI_CI
	.p2align	8
	.type	bluestein_single_back_len324_dim1_sp_op_CI_CI,@function
bluestein_single_back_len324_dim1_sp_op_CI_CI: ; @bluestein_single_back_len324_dim1_sp_op_CI_CI
; %bb.0:
	s_load_dwordx4 s[12:15], s[0:1], 0x28
	v_mul_u32_u24_e32 v1, 0x4be, v0
	v_add_u32_sdwa v24, s2, v1 dst_sel:DWORD dst_unused:UNUSED_PAD src0_sel:DWORD src1_sel:WORD_1
	v_mov_b32_e32 v25, 0
	s_waitcnt lgkmcnt(0)
	v_cmp_gt_u64_e32 vcc, s[12:13], v[24:25]
	s_and_saveexec_b64 s[2:3], vcc
	s_cbranch_execz .LBB0_2
; %bb.1:
	s_load_dwordx4 s[4:7], s[0:1], 0x18
	s_load_dwordx4 s[8:11], s[0:1], 0x0
	v_mov_b32_e32 v2, s14
	v_mov_b32_e32 v3, s15
	;; [unrolled: 1-line block ×3, first 2 shown]
	s_waitcnt lgkmcnt(0)
	s_load_dwordx4 s[12:15], s[4:5], 0x0
	v_mul_lo_u16_sdwa v1, v1, v4 dst_sel:DWORD dst_unused:UNUSED_PAD src0_sel:WORD_1 src1_sel:DWORD
	v_sub_u16_e32 v45, v0, v1
	v_mov_b32_e32 v25, 0x360
	v_lshlrev_b32_e32 v47, 3, v45
	s_waitcnt lgkmcnt(0)
	v_mad_u64_u32 v[0:1], s[2:3], s14, v24, 0
	v_mov_b32_e32 v4, v1
	v_mad_u64_u32 v[4:5], s[2:3], s15, v24, v[4:5]
	v_mov_b32_e32 v1, v4
	v_mad_u64_u32 v[4:5], s[2:3], s12, v45, 0
	v_mov_b32_e32 v6, v5
	v_mad_u64_u32 v[6:7], s[2:3], s13, v45, v[6:7]
	v_mov_b32_e32 v5, v6
	v_lshl_add_u64 v[0:1], v[0:1], 3, v[2:3]
	v_lshl_add_u64 v[0:1], v[4:5], 3, v[0:1]
	global_load_dwordx2 v[2:3], v[0:1], off
	v_mad_u64_u32 v[0:1], s[2:3], s12, v25, v[0:1]
	s_mul_i32 s4, s13, 0x360
	v_add_u32_e32 v1, s4, v1
	v_mad_u64_u32 v[4:5], s[2:3], s12, v25, v[0:1]
	global_load_dwordx2 v[34:35], v47, s[8:9]
	v_add_u32_e32 v5, s4, v5
	v_mov_b32_e32 v43, 0xfffffaf0
	global_load_dwordx2 v[6:7], v[0:1], off
	global_load_dwordx2 v[8:9], v[4:5], off
	global_load_dwordx2 v[36:37], v47, s[8:9] offset:864
	global_load_dwordx2 v[30:31], v47, s[8:9] offset:1728
	v_mad_u64_u32 v[0:1], s[2:3], s12, v43, v[4:5]
	s_add_u32 s14, s8, 0xa20
	s_mul_i32 s2, s13, 0xfffffaf0
	s_addc_u32 s15, s9, 0
	s_sub_i32 s2, s2, s12
	v_add_u32_e32 v1, s2, v1
	global_load_dwordx2 v[26:27], v47, s[8:9] offset:1296
	global_load_dwordx2 v[32:33], v47, s[8:9] offset:432
	global_load_dwordx2 v[4:5], v[0:1], off
	v_mad_u64_u32 v[0:1], s[2:3], s12, v25, v[0:1]
	v_add_u32_e32 v1, s4, v1
	global_load_dwordx2 v[10:11], v[0:1], off
	v_mad_u64_u32 v[0:1], s[2:3], s12, v25, v[0:1]
	v_add_u32_e32 v1, s4, v1
	global_load_dwordx2 v[28:29], v47, s[8:9] offset:2160
	global_load_dwordx2 v[12:13], v[0:1], off
	v_mul_lo_u16_e32 v0, 3, v45
	v_lshlrev_b32_e32 v53, 3, v0
	v_add_u32_e32 v49, 0x400, v47
	s_load_dwordx4 s[4:7], s[6:7], 0x0
	v_add_u32_e32 v48, 54, v45
	v_mul_u32_u24_e32 v14, 3, v48
	s_mov_b32 s2, 0x3f5db3d7
	v_lshlrev_b32_e32 v54, 3, v14
	s_load_dwordx2 s[0:1], s[0:1], 0x38
	s_waitcnt vmcnt(10)
	v_mul_f32_e32 v0, v3, v35
	v_mul_f32_e32 v1, v2, v35
	v_fmac_f32_e32 v0, v2, v34
	v_fma_f32 v1, v3, v34, -v1
	s_waitcnt vmcnt(7)
	v_mul_f32_e32 v2, v7, v37
	v_mul_f32_e32 v3, v6, v37
	v_fmac_f32_e32 v2, v6, v36
	v_fma_f32 v3, v7, v36, -v3
	ds_write_b64 v47, v[2:3] offset:864
	s_waitcnt vmcnt(6)
	v_mul_f32_e32 v2, v9, v31
	v_mul_f32_e32 v3, v8, v31
	v_fmac_f32_e32 v2, v8, v30
	v_fma_f32 v3, v9, v30, -v3
	ds_write_b64 v47, v[2:3] offset:1728
	s_waitcnt vmcnt(3)
	v_mul_f32_e32 v2, v5, v33
	v_mul_f32_e32 v3, v4, v33
	v_fmac_f32_e32 v2, v4, v32
	v_fma_f32 v3, v5, v32, -v3
	ds_write2_b64 v47, v[0:1], v[2:3] offset1:54
	s_waitcnt vmcnt(2)
	v_mul_f32_e32 v0, v11, v27
	v_mul_f32_e32 v1, v10, v27
	v_fmac_f32_e32 v0, v10, v26
	v_fma_f32 v1, v11, v26, -v1
	ds_write_b64 v47, v[0:1] offset:1296
	s_waitcnt vmcnt(0)
	v_mul_f32_e32 v0, v13, v29
	v_mul_f32_e32 v1, v12, v29
	v_fmac_f32_e32 v0, v12, v28
	v_fma_f32 v1, v13, v28, -v1
	ds_write_b64 v47, v[0:1] offset:2160
	s_waitcnt lgkmcnt(0)
	; wave barrier
	s_waitcnt lgkmcnt(0)
	ds_read2_b64 v[0:3], v47 offset1:54
	ds_read2_b64 v[4:7], v47 offset0:108 offset1:162
	ds_read2_b64 v[8:11], v49 offset0:88 offset1:142
	s_waitcnt lgkmcnt(0)
	; wave barrier
	s_waitcnt lgkmcnt(0)
	v_pk_add_f32 v[14:15], v[0:1], v[4:5]
	v_pk_add_f32 v[16:17], v[4:5], v[8:9]
	v_pk_add_f32 v[4:5], v[4:5], v[8:9] neg_lo:[0,1] neg_hi:[0,1]
	v_pk_fma_f32 v[0:1], v[16:17], 0.5, v[0:1] op_sel_hi:[1,0,1] neg_lo:[1,0,0] neg_hi:[1,0,0]
	v_pk_mul_f32 v[4:5], v[4:5], s[2:3] op_sel_hi:[1,0]
	v_pk_add_f32 v[8:9], v[14:15], v[8:9]
	v_pk_add_f32 v[14:15], v[0:1], v[4:5] op_sel:[0,1] op_sel_hi:[1,0]
	v_pk_add_f32 v[0:1], v[0:1], v[4:5] op_sel:[0,1] op_sel_hi:[1,0] neg_lo:[0,1] neg_hi:[0,1]
	v_mov_b32_e32 v4, v14
	v_mov_b32_e32 v5, v1
	;; [unrolled: 1-line block ×3, first 2 shown]
	v_pk_add_f32 v[18:19], v[6:7], v[10:11]
	ds_write2_b64 v53, v[8:9], v[4:5] offset1:1
	ds_write_b64 v53, v[0:1] offset:16
	v_pk_add_f32 v[0:1], v[6:7], v[10:11] neg_lo:[0,1] neg_hi:[0,1]
	v_pk_add_f32 v[12:13], v[2:3], v[6:7]
	v_pk_fma_f32 v[2:3], v[18:19], 0.5, v[2:3] op_sel_hi:[1,0,1] neg_lo:[1,0,0] neg_hi:[1,0,0]
	v_pk_mul_f32 v[0:1], v[0:1], s[2:3] op_sel_hi:[1,0]
	s_movk_i32 s3, 0xab
	v_pk_add_f32 v[4:5], v[2:3], v[0:1] op_sel:[0,1] op_sel_hi:[1,0]
	v_pk_add_f32 v[0:1], v[2:3], v[0:1] op_sel:[0,1] op_sel_hi:[1,0] neg_lo:[0,1] neg_hi:[0,1]
	v_pk_add_f32 v[12:13], v[12:13], v[10:11]
	v_mov_b32_e32 v3, v1
	v_mov_b32_e32 v1, v5
	ds_write_b64 v54, v[0:1] offset:16
	v_mul_lo_u16_sdwa v0, v45, s3 dst_sel:DWORD dst_unused:UNUSED_PAD src0_sel:BYTE_0 src1_sel:DWORD
	v_lshrrev_b16_e32 v6, 9, v0
	v_mul_lo_u16_e32 v0, 3, v6
	v_sub_u16_e32 v0, v45, v0
	v_and_b32_e32 v7, 0xff, v0
	v_mov_b32_e32 v2, v4
	v_mad_u64_u32 v[4:5], s[12:13], v7, 40, s[10:11]
	ds_write2_b64 v54, v[12:13], v[2:3] offset1:1
	s_waitcnt lgkmcnt(0)
	; wave barrier
	s_waitcnt lgkmcnt(0)
	global_load_dwordx4 v[0:3], v[4:5], off
	global_load_dwordx4 v[8:11], v[4:5], off offset:16
	global_load_dwordx2 v[38:39], v[4:5], off offset:32
	v_mul_u32_u24_e32 v4, 18, v6
	v_add_lshl_u32 v51, v4, v7, 3
	ds_read2_b64 v[4:7], v47 offset0:108 offset1:162
	ds_read2_b64 v[12:15], v49 offset0:88 offset1:142
	ds_read2_b64 v[16:19], v47 offset1:54
	s_waitcnt lgkmcnt(0)
	; wave barrier
	s_waitcnt vmcnt(2) lgkmcnt(0)
	v_mov_b32_e32 v46, v3
	s_waitcnt vmcnt(1)
	v_pk_mul_f32 v[20:21], v[6:7], v[8:9] op_sel:[0,1]
	s_waitcnt vmcnt(0)
	v_pk_mul_f32 v[22:23], v[14:15], v[38:39] op_sel:[0,1]
	v_mov_b32_e32 v50, v11
	v_pk_mul_f32 v[40:41], v[18:19], v[0:1] op_sel:[0,1]
	v_pk_mul_f32 v[56:57], v[4:5], v[46:47] op_sel_hi:[1,0]
	v_pk_fma_f32 v[58:59], v[6:7], v[8:9], v[20:21] op_sel:[0,0,1] op_sel_hi:[1,1,0] neg_lo:[0,0,1] neg_hi:[0,0,1]
	v_pk_fma_f32 v[6:7], v[6:7], v[8:9], v[20:21] op_sel:[0,0,1] op_sel_hi:[1,0,0]
	v_pk_fma_f32 v[20:21], v[14:15], v[38:39], v[22:23] op_sel:[0,0,1] op_sel_hi:[1,1,0] neg_lo:[0,0,1] neg_hi:[0,0,1]
	v_pk_fma_f32 v[14:15], v[14:15], v[38:39], v[22:23] op_sel:[0,0,1] op_sel_hi:[1,0,0]
	v_pk_mul_f32 v[22:23], v[12:13], v[50:51] op_sel_hi:[1,0]
	v_pk_fma_f32 v[60:61], v[18:19], v[0:1], v[40:41] op_sel:[0,0,1] op_sel_hi:[1,1,0] neg_lo:[0,0,1] neg_hi:[0,0,1]
	v_pk_fma_f32 v[18:19], v[18:19], v[0:1], v[40:41] op_sel:[0,0,1] op_sel_hi:[1,0,0]
	v_pk_fma_f32 v[40:41], v[4:5], v[2:3], v[56:57] op_sel:[0,0,1] op_sel_hi:[1,1,0] neg_lo:[0,0,1] neg_hi:[0,0,1]
	v_pk_fma_f32 v[4:5], v[4:5], v[2:3], v[56:57] op_sel:[0,0,1] op_sel_hi:[1,0,0]
	;; [unrolled: 2-line block ×3, first 2 shown]
	v_mov_b32_e32 v61, v19
	v_mov_b32_e32 v59, v7
	;; [unrolled: 1-line block ×5, first 2 shown]
	v_pk_add_f32 v[4:5], v[60:61], v[58:59]
	v_pk_add_f32 v[6:7], v[58:59], v[20:21]
	v_pk_add_f32 v[12:13], v[58:59], v[20:21] neg_lo:[0,1] neg_hi:[0,1]
	v_pk_add_f32 v[4:5], v[4:5], v[20:21]
	v_pk_fma_f32 v[6:7], v[6:7], 0.5, v[60:61] op_sel_hi:[1,0,1] neg_lo:[1,0,0] neg_hi:[1,0,0]
	v_pk_add_f32 v[18:19], v[40:41], v[56:57]
	v_pk_add_f32 v[20:21], v[40:41], v[56:57] neg_lo:[0,1] neg_hi:[0,1]
	v_pk_add_f32 v[14:15], v[16:17], v[40:41]
	v_pk_fma_f32 v[16:17], v[18:19], 0.5, v[16:17] op_sel_hi:[1,0,1] neg_lo:[1,0,0] neg_hi:[1,0,0]
	v_pk_mul_f32 v[18:19], v[20:21], s[2:3] op_sel_hi:[1,0]
	v_pk_fma_f32 v[20:21], v[12:13], s[2:3], v[6:7] op_sel:[0,0,1] op_sel_hi:[1,0,0]
	v_pk_fma_f32 v[6:7], v[12:13], s[2:3], v[6:7] op_sel:[0,0,1] op_sel_hi:[1,0,0] neg_lo:[1,0,0] neg_hi:[1,0,0]
	v_pk_add_f32 v[22:23], v[18:19], v[16:17] op_sel:[1,0] op_sel_hi:[0,1]
	v_pk_add_f32 v[16:17], v[16:17], v[18:19] op_sel:[0,1] op_sel_hi:[1,0] neg_lo:[0,1] neg_hi:[0,1]
	v_mov_b32_e32 v18, v20
	v_mov_b32_e32 v19, v7
	v_mul_f32_e32 v40, 0xbf5db3d7, v21
	v_pk_add_f32 v[14:15], v[14:15], v[56:57]
	s_mov_b32 s3, 0xbf5db3d7
	v_mul_f32_e32 v20, 0x3f5db3d7, v6
	v_fmac_f32_e32 v40, 0.5, v6
	v_pk_mul_f32 v[6:7], v[18:19], 0.5 op_sel_hi:[1,0]
	v_pk_add_f32 v[12:13], v[14:15], v[4:5]
	v_pk_add_f32 v[4:5], v[14:15], v[4:5] neg_lo:[0,1] neg_hi:[0,1]
	v_fmac_f32_e32 v20, 0.5, v21
	v_mov_b32_e32 v14, v16
	v_mov_b32_e32 v15, v23
	v_pk_fma_f32 v[6:7], v[18:19], s[2:3], v[6:7] op_sel:[0,0,1] op_sel_hi:[1,1,0] neg_lo:[0,0,1] neg_hi:[0,0,1]
	v_add_f32_e32 v18, v22, v20
	v_add_f32_e32 v19, v17, v40
	v_sub_f32_e32 v16, v22, v20
	v_pk_add_f32 v[20:21], v[14:15], v[6:7]
	v_sub_f32_e32 v17, v17, v40
	ds_write2_b64 v51, v[12:13], v[18:19] offset1:3
	v_pk_add_f32 v[6:7], v[14:15], v[6:7] neg_lo:[0,1] neg_hi:[0,1]
	ds_write2_b64 v51, v[20:21], v[4:5] offset0:6 offset1:9
	ds_write2_b64 v51, v[16:17], v[6:7] offset0:12 offset1:15
	v_mov_b32_e32 v4, 57
	v_mul_lo_u16_sdwa v4, v45, v4 dst_sel:DWORD dst_unused:UNUSED_PAD src0_sel:BYTE_0 src1_sel:DWORD
	v_lshrrev_b16_e32 v52, 10, v4
	v_mul_lo_u16_e32 v4, 18, v52
	v_sub_u16_e32 v4, v45, v4
	v_and_b32_e32 v55, 0xff, v4
	v_mad_u64_u32 v[16:17], s[12:13], v55, 40, s[10:11]
	s_waitcnt lgkmcnt(0)
	; wave barrier
	s_waitcnt lgkmcnt(0)
	global_load_dwordx4 v[4:7], v[16:17], off offset:136
	global_load_dwordx4 v[12:15], v[16:17], off offset:120
	global_load_dwordx2 v[40:41], v[16:17], off offset:152
	ds_read2_b64 v[16:19], v47 offset0:108 offset1:162
	ds_read2_b64 v[20:23], v49 offset0:88 offset1:142
	v_mul_u32_u24_e32 v52, 0x6c, v52
	v_add_lshl_u32 v55, v52, v55, 3
	s_waitcnt vmcnt(2) lgkmcnt(1)
	v_pk_mul_f32 v[56:57], v[18:19], v[4:5] op_sel:[0,1]
	s_waitcnt vmcnt(1)
	v_mov_b32_e32 v42, v15
	v_pk_fma_f32 v[58:59], v[18:19], v[4:5], v[56:57] op_sel:[0,0,1] op_sel_hi:[1,1,0] neg_lo:[0,0,1] neg_hi:[0,0,1]
	v_pk_fma_f32 v[56:57], v[18:19], v[4:5], v[56:57] op_sel:[0,0,1] op_sel_hi:[1,0,0]
	v_pk_mul_f32 v[18:19], v[16:17], v[42:43] op_sel_hi:[1,0]
	v_mov_b32_e32 v44, v7
	v_pk_fma_f32 v[60:61], v[16:17], v[14:15], v[18:19] op_sel:[0,0,1] op_sel_hi:[1,1,0] neg_lo:[0,0,1] neg_hi:[0,0,1]
	v_pk_fma_f32 v[62:63], v[16:17], v[14:15], v[18:19] op_sel:[0,0,1] op_sel_hi:[1,0,0]
	s_waitcnt vmcnt(0) lgkmcnt(0)
	v_pk_mul_f32 v[16:17], v[22:23], v[40:41] op_sel:[0,1]
	v_mov_b32_e32 v59, v57
	v_pk_fma_f32 v[64:65], v[22:23], v[40:41], v[16:17] op_sel:[0,0,1] op_sel_hi:[1,1,0] neg_lo:[0,0,1] neg_hi:[0,0,1]
	v_pk_fma_f32 v[22:23], v[22:23], v[40:41], v[16:17] op_sel:[0,0,1] op_sel_hi:[1,0,0]
	v_pk_mul_f32 v[16:17], v[20:21], v[44:45] op_sel_hi:[1,0]
	v_mov_b32_e32 v65, v23
	v_pk_fma_f32 v[66:67], v[20:21], v[6:7], v[16:17] op_sel:[0,0,1] op_sel_hi:[1,1,0] neg_lo:[0,0,1] neg_hi:[0,0,1]
	v_pk_fma_f32 v[20:21], v[20:21], v[6:7], v[16:17] op_sel:[0,0,1] op_sel_hi:[1,0,0]
	ds_read2_b64 v[16:19], v47 offset1:54
	v_mov_b32_e32 v61, v63
	v_mov_b32_e32 v67, v21
	v_pk_add_f32 v[22:23], v[58:59], v[64:65]
	v_pk_add_f32 v[56:57], v[58:59], v[64:65] neg_lo:[0,1] neg_hi:[0,1]
	s_waitcnt lgkmcnt(0)
	v_pk_mul_f32 v[68:69], v[18:19], v[12:13] op_sel:[0,1]
	v_lshlrev_b32_e32 v62, 4, v45
	v_pk_fma_f32 v[70:71], v[18:19], v[12:13], v[68:69] op_sel:[0,0,1] op_sel_hi:[1,1,0] neg_lo:[0,0,1] neg_hi:[0,0,1]
	v_pk_fma_f32 v[18:19], v[18:19], v[12:13], v[68:69] op_sel:[0,0,1] op_sel_hi:[1,0,0]
	s_nop 0
	v_mov_b32_e32 v71, v19
	v_pk_add_f32 v[18:19], v[60:61], v[66:67]
	v_pk_fma_f32 v[22:23], v[22:23], 0.5, v[70:71] op_sel_hi:[1,0,1] neg_lo:[1,0,0] neg_hi:[1,0,0]
	v_pk_fma_f32 v[18:19], v[18:19], 0.5, v[16:17] op_sel_hi:[1,0,1] neg_lo:[1,0,0] neg_hi:[1,0,0]
	v_pk_add_f32 v[16:17], v[16:17], v[60:61]
	v_pk_add_f32 v[20:21], v[70:71], v[58:59]
	v_pk_add_f32 v[58:59], v[60:61], v[66:67] neg_lo:[0,1] neg_hi:[0,1]
	v_pk_fma_f32 v[60:61], v[56:57], s[2:3], v[22:23] op_sel:[0,0,1] op_sel_hi:[1,0,0]
	v_pk_fma_f32 v[22:23], v[56:57], s[2:3], v[22:23] op_sel:[0,0,1] op_sel_hi:[1,0,0] neg_lo:[1,0,0] neg_hi:[1,0,0]
	v_pk_add_f32 v[20:21], v[20:21], v[64:65]
	v_mul_f32_e32 v52, 0x3f5db3d7, v22
	v_pk_add_f32 v[16:17], v[16:17], v[66:67]
	v_pk_mul_f32 v[56:57], v[58:59], s[2:3] op_sel_hi:[1,0]
	v_mul_f32_e32 v63, 0xbf5db3d7, v61
	v_fmac_f32_e32 v52, 0.5, v61
	v_mov_b32_e32 v61, v23
	v_pk_add_f32 v[58:59], v[56:57], v[18:19] op_sel:[1,0] op_sel_hi:[0,1]
	v_pk_add_f32 v[18:19], v[18:19], v[56:57] op_sel:[0,1] op_sel_hi:[1,0] neg_lo:[0,1] neg_hi:[0,1]
	v_pk_add_f32 v[56:57], v[16:17], v[20:21]
	v_pk_add_f32 v[16:17], v[16:17], v[20:21] neg_lo:[0,1] neg_hi:[0,1]
	v_pk_mul_f32 v[20:21], v[60:61], 0.5 op_sel_hi:[1,0]
	v_fmac_f32_e32 v63, 0.5, v22
	v_pk_fma_f32 v[20:21], v[60:61], s[2:3], v[20:21] op_sel:[0,0,1] op_sel_hi:[1,1,0] neg_lo:[0,0,1] neg_hi:[0,0,1]
	v_mov_b32_e32 v61, v59
	v_mov_b32_e32 v60, v18
	v_add_f32_e32 v22, v58, v52
	v_add_f32_e32 v23, v19, v63
	v_sub_f32_e32 v59, v19, v63
	v_pk_add_f32 v[18:19], v[60:61], v[20:21]
	v_pk_add_f32 v[20:21], v[60:61], v[20:21] neg_lo:[0,1] neg_hi:[0,1]
	; wave barrier
	v_sub_f32_e32 v58, v58, v52
	ds_write2_b64 v55, v[56:57], v[22:23] offset1:18
	ds_write2_b64 v55, v[18:19], v[16:17] offset0:36 offset1:54
	ds_write2_b64 v55, v[58:59], v[20:21] offset0:72 offset1:90
	s_waitcnt lgkmcnt(0)
	; wave barrier
	s_waitcnt lgkmcnt(0)
	global_load_dwordx4 v[16:19], v62, s[10:11] offset:840
	v_lshlrev_b32_e32 v20, 4, v48
	global_load_dwordx4 v[20:23], v20, s[10:11] offset:840
	ds_read2_b64 v[56:59], v47 offset0:108 offset1:162
	s_mov_b32 s10, -0.5
	s_mov_b32 s11, s2
	s_waitcnt vmcnt(1) lgkmcnt(0)
	v_pk_mul_f32 v[60:61], v[56:57], v[16:17] op_sel:[0,1]
	s_nop 0
	v_pk_fma_f32 v[62:63], v[56:57], v[16:17], v[60:61] op_sel:[0,0,1] op_sel_hi:[1,1,0] neg_lo:[0,0,1] neg_hi:[0,0,1]
	v_pk_fma_f32 v[60:61], v[56:57], v[16:17], v[60:61] op_sel:[0,0,1] op_sel_hi:[1,0,0]
	s_waitcnt vmcnt(0)
	v_pk_mul_f32 v[56:57], v[58:59], v[20:21] op_sel:[0,1]
	v_mov_b32_e32 v52, v19
	v_pk_fma_f32 v[64:65], v[58:59], v[20:21], v[56:57] op_sel:[0,0,1] op_sel_hi:[1,1,0] neg_lo:[0,0,1] neg_hi:[0,0,1]
	v_pk_fma_f32 v[66:67], v[58:59], v[20:21], v[56:57] op_sel:[0,0,1] op_sel_hi:[1,0,0]
	ds_read2_b64 v[56:59], v49 offset0:88 offset1:142
	v_mov_b32_e32 v48, v23
	v_mov_b32_e32 v63, v61
	;; [unrolled: 1-line block ×3, first 2 shown]
	s_waitcnt lgkmcnt(0)
	v_pk_mul_f32 v[68:69], v[56:57], v[52:53] op_sel_hi:[1,0]
	s_nop 0
	v_pk_fma_f32 v[70:71], v[56:57], v[18:19], v[68:69] op_sel:[0,0,1] op_sel_hi:[1,1,0] neg_lo:[0,0,1] neg_hi:[0,0,1]
	v_pk_fma_f32 v[56:57], v[56:57], v[18:19], v[68:69] op_sel:[0,0,1] op_sel_hi:[1,0,0]
	v_pk_mul_f32 v[68:69], v[58:59], v[48:49] op_sel_hi:[1,0]
	v_mov_b32_e32 v71, v57
	v_pk_fma_f32 v[72:73], v[58:59], v[22:23], v[68:69] op_sel:[0,0,1] op_sel_hi:[1,1,0] neg_lo:[0,0,1] neg_hi:[0,0,1]
	v_pk_fma_f32 v[58:59], v[58:59], v[22:23], v[68:69] op_sel:[0,0,1] op_sel_hi:[1,0,0]
	v_pk_add_f32 v[60:61], v[62:63], v[70:71]
	v_mov_b32_e32 v73, v59
	ds_read2_b64 v[56:59], v47 offset1:54
	v_pk_add_f32 v[66:67], v[64:65], v[72:73]
	s_waitcnt lgkmcnt(0)
	v_pk_fma_f32 v[60:61], v[60:61], 0.5, v[56:57] op_sel_hi:[1,0,1] neg_lo:[1,0,0] neg_hi:[1,0,0]
	v_pk_add_f32 v[56:57], v[56:57], v[62:63]
	v_pk_add_f32 v[62:63], v[62:63], v[70:71] neg_lo:[0,1] neg_hi:[0,1]
	v_pk_fma_f32 v[66:67], v[66:67], 0.5, v[58:59] op_sel_hi:[1,0,1] neg_lo:[1,0,0] neg_hi:[1,0,0]
	v_pk_mul_f32 v[62:63], v[62:63], s[2:3] op_sel_hi:[1,0]
	v_pk_add_f32 v[58:59], v[58:59], v[64:65]
	v_pk_add_f32 v[68:69], v[60:61], v[62:63] op_sel:[0,1] op_sel_hi:[1,0]
	v_pk_add_f32 v[60:61], v[60:61], v[62:63] op_sel:[0,1] op_sel_hi:[1,0] neg_lo:[0,1] neg_hi:[0,1]
	v_pk_add_f32 v[56:57], v[56:57], v[70:71]
	v_mov_b32_e32 v62, v68
	v_mov_b32_e32 v63, v61
	v_pk_add_f32 v[58:59], v[58:59], v[72:73]
	v_mov_b32_e32 v61, v69
	ds_write_b64 v47, v[62:63] offset:864
	ds_write_b64 v47, v[60:61] offset:1728
	ds_write2_b64 v47, v[56:57], v[58:59] offset1:54
	v_pk_add_f32 v[56:57], v[64:65], v[72:73] neg_lo:[0,1] neg_hi:[0,1]
	s_nop 0
	v_pk_mul_f32 v[56:57], v[56:57], s[2:3] op_sel_hi:[1,0]
	s_nop 0
	v_pk_add_f32 v[58:59], v[66:67], v[56:57] op_sel:[0,1] op_sel_hi:[1,0]
	v_pk_add_f32 v[56:57], v[66:67], v[56:57] op_sel:[0,1] op_sel_hi:[1,0] neg_lo:[0,1] neg_hi:[0,1]
	v_mov_b32_e32 v60, v58
	v_mov_b32_e32 v61, v57
	;; [unrolled: 1-line block ×3, first 2 shown]
	ds_write_b64 v47, v[60:61] offset:1296
	ds_write_b64 v47, v[56:57] offset:2160
	s_waitcnt lgkmcnt(0)
	; wave barrier
	s_waitcnt lgkmcnt(0)
	global_load_dwordx2 v[60:61], v47, s[8:9] offset:2592
	global_load_dwordx2 v[62:63], v47, s[14:15] offset:2160
	ds_read2_b64 v[56:59], v47 offset1:54
	s_mov_b32 s8, 0.5
	s_mov_b32 s9, s2
	s_waitcnt vmcnt(1) lgkmcnt(0)
	v_mul_f32_e32 v19, v57, v61
	v_mul_f32_e32 v65, v56, v61
	v_fma_f32 v64, v56, v60, -v19
	v_fmac_f32_e32 v65, v57, v60
	global_load_dwordx2 v[56:57], v47, s[14:15] offset:432
	global_load_dwordx2 v[60:61], v47, s[14:15] offset:864
	;; [unrolled: 1-line block ×4, first 2 shown]
	ds_write_b64 v47, v[64:65]
	s_waitcnt vmcnt(3)
	v_mul_f32_e32 v19, v59, v57
	v_mul_f32_e32 v71, v58, v57
	v_fma_f32 v70, v58, v56, -v19
	v_fmac_f32_e32 v71, v59, v56
	ds_read2_b64 v[56:59], v47 offset0:108 offset1:162
	s_waitcnt vmcnt(2) lgkmcnt(0)
	v_mul_f32_e32 v19, v57, v61
	v_fma_f32 v64, v56, v60, -v19
	v_mul_f32_e32 v65, v56, v61
	s_waitcnt vmcnt(1)
	v_mul_f32_e32 v19, v59, v67
	v_mul_f32_e32 v61, v58, v67
	v_fmac_f32_e32 v65, v57, v60
	v_fma_f32 v60, v58, v66, -v19
	v_fmac_f32_e32 v61, v59, v66
	ds_read2_b64 v[56:59], v49 offset0:88 offset1:142
	s_waitcnt vmcnt(0) lgkmcnt(0)
	v_mul_f32_e32 v19, v57, v69
	v_mul_f32_e32 v67, v56, v69
	v_fma_f32 v66, v56, v68, -v19
	v_fmac_f32_e32 v67, v57, v68
	v_mul_f32_e32 v19, v59, v63
	v_mul_f32_e32 v57, v58, v63
	v_fma_f32 v56, v58, v62, -v19
	v_fmac_f32_e32 v57, v59, v62
	ds_write2_b64 v47, v[70:71], v[64:65] offset0:54 offset1:108
	ds_write2_b64 v47, v[60:61], v[66:67] offset0:162 offset1:216
	ds_write_b64 v47, v[56:57] offset:2160
	s_waitcnt lgkmcnt(0)
	; wave barrier
	s_waitcnt lgkmcnt(0)
	ds_read2_b64 v[56:59], v47 offset1:54
	ds_read2_b64 v[60:63], v47 offset0:108 offset1:162
	ds_read2_b64 v[64:67], v49 offset0:88 offset1:142
	s_waitcnt lgkmcnt(0)
	; wave barrier
	s_waitcnt lgkmcnt(0)
	v_pk_add_f32 v[70:71], v[56:57], v[60:61]
	v_pk_add_f32 v[72:73], v[60:61], v[64:65]
	v_pk_add_f32 v[60:61], v[60:61], v[64:65] neg_lo:[0,1] neg_hi:[0,1]
	v_pk_add_f32 v[68:69], v[58:59], v[62:63]
	v_pk_fma_f32 v[56:57], v[72:73], 0.5, v[56:57] op_sel_hi:[1,0,1] neg_lo:[1,0,0] neg_hi:[1,0,0]
	v_pk_mul_f32 v[60:61], v[60:61], s[2:3] op_sel_hi:[1,0]
	v_pk_add_f32 v[74:75], v[62:63], v[66:67]
	v_pk_add_f32 v[62:63], v[62:63], v[66:67] neg_lo:[0,1] neg_hi:[0,1]
	v_pk_add_f32 v[66:67], v[68:69], v[66:67]
	v_pk_add_f32 v[68:69], v[56:57], v[60:61] op_sel:[0,1] op_sel_hi:[1,0] neg_lo:[0,1] neg_hi:[0,1]
	v_pk_add_f32 v[56:57], v[56:57], v[60:61] op_sel:[0,1] op_sel_hi:[1,0]
	v_pk_add_f32 v[64:65], v[70:71], v[64:65]
	v_mov_b32_e32 v61, v57
	v_mov_b32_e32 v57, v69
	v_pk_fma_f32 v[58:59], v[74:75], 0.5, v[58:59] op_sel_hi:[1,0,1] neg_lo:[1,0,0] neg_hi:[1,0,0]
	v_mov_b32_e32 v60, v68
	ds_write_b64 v53, v[56:57] offset:16
	v_pk_mul_f32 v[56:57], v[62:63], s[2:3] op_sel_hi:[1,0]
	ds_write2_b64 v53, v[64:65], v[60:61] offset1:1
	v_pk_add_f32 v[60:61], v[58:59], v[56:57] op_sel:[0,1] op_sel_hi:[1,0] neg_lo:[0,1] neg_hi:[0,1]
	v_pk_add_f32 v[56:57], v[58:59], v[56:57] op_sel:[0,1] op_sel_hi:[1,0]
	v_mov_b32_e32 v58, v60
	v_mov_b32_e32 v59, v57
	;; [unrolled: 1-line block ×3, first 2 shown]
	ds_write2_b64 v54, v[66:67], v[58:59] offset1:1
	ds_write_b64 v54, v[56:57] offset:16
	s_waitcnt lgkmcnt(0)
	; wave barrier
	s_waitcnt lgkmcnt(0)
	ds_read2_b64 v[56:59], v49 offset0:88 offset1:142
	s_waitcnt lgkmcnt(0)
	v_pk_mul_f32 v[60:61], v[38:39], v[58:59] op_sel:[1,0]
	s_nop 0
	v_pk_fma_f32 v[62:63], v[38:39], v[58:59], v[60:61] op_sel:[0,0,1] op_sel_hi:[1,1,0]
	v_pk_fma_f32 v[38:39], v[38:39], v[58:59], v[60:61] op_sel:[0,0,1] op_sel_hi:[0,1,0] neg_lo:[0,0,1] neg_hi:[0,0,1]
	v_pk_mul_f32 v[58:59], v[50:51], v[56:57] op_sel_hi:[0,1]
	v_pk_fma_f32 v[60:61], v[10:11], v[56:57], v[58:59] op_sel:[0,0,1] op_sel_hi:[1,1,0]
	v_pk_fma_f32 v[64:65], v[10:11], v[56:57], v[58:59] op_sel:[0,0,1] op_sel_hi:[0,1,0] neg_lo:[0,0,1] neg_hi:[0,0,1]
	ds_read2_b64 v[56:59], v47 offset0:108 offset1:162
	v_mov_b32_e32 v61, v65
	v_mov_b32_e32 v63, v39
	s_waitcnt lgkmcnt(0)
	v_pk_mul_f32 v[10:11], v[8:9], v[58:59] op_sel:[1,0]
	s_nop 0
	v_pk_fma_f32 v[66:67], v[8:9], v[58:59], v[10:11] op_sel:[0,0,1] op_sel_hi:[1,1,0]
	v_pk_fma_f32 v[58:59], v[8:9], v[58:59], v[10:11] op_sel:[0,0,1] op_sel_hi:[0,1,0] neg_lo:[0,0,1] neg_hi:[0,0,1]
	v_pk_mul_f32 v[8:9], v[46:47], v[56:57] op_sel_hi:[0,1]
	v_pk_fma_f32 v[68:69], v[2:3], v[56:57], v[8:9] op_sel:[0,0,1] op_sel_hi:[1,1,0]
	v_pk_fma_f32 v[2:3], v[2:3], v[56:57], v[8:9] op_sel:[0,0,1] op_sel_hi:[0,1,0] neg_lo:[0,0,1] neg_hi:[0,0,1]
	ds_read2_b64 v[8:11], v47 offset1:54
	v_mov_b32_e32 v69, v3
	v_mov_b32_e32 v67, v59
	v_pk_add_f32 v[2:3], v[68:69], v[60:61]
	v_pk_add_f32 v[38:39], v[66:67], v[62:63]
	s_waitcnt lgkmcnt(0)
	v_pk_mul_f32 v[56:57], v[0:1], v[10:11] op_sel:[1,0]
	v_pk_fma_f32 v[2:3], v[2:3], 0.5, v[8:9] op_sel_hi:[1,0,1] neg_lo:[1,0,0] neg_hi:[1,0,0]
	v_pk_fma_f32 v[70:71], v[0:1], v[10:11], v[56:57] op_sel:[0,0,1] op_sel_hi:[0,1,0]
	v_pk_fma_f32 v[0:1], v[0:1], v[10:11], v[56:57] op_sel:[0,0,1] op_sel_hi:[0,1,0] neg_lo:[0,0,1] neg_hi:[0,0,1]
	v_mov_b32_e32 v71, v1
	v_pk_add_f32 v[10:11], v[68:69], v[60:61] neg_lo:[0,1] neg_hi:[0,1]
	v_mov_b32_e32 v0, v70
	v_pk_add_f32 v[8:9], v[8:9], v[68:69]
	v_pk_add_f32 v[56:57], v[70:71], v[66:67]
	v_pk_add_f32 v[58:59], v[66:67], v[62:63] neg_lo:[0,1] neg_hi:[0,1]
	v_fmac_f32_e32 v1, -0.5, v39
	v_pk_mul_f32 v[10:11], v[10:11], s[2:3] op_sel_hi:[1,0]
	v_pk_add_f32 v[8:9], v[8:9], v[60:61]
	v_pk_add_f32 v[56:57], v[56:57], v[62:63]
	v_fmac_f32_e32 v0, -0.5, v38
	s_mov_b32 s3, s8
	v_pk_add_f32 v[38:39], v[2:3], v[10:11] op_sel:[0,1] op_sel_hi:[1,0] neg_lo:[0,1] neg_hi:[0,1]
	v_pk_add_f32 v[2:3], v[2:3], v[10:11] op_sel:[0,1] op_sel_hi:[1,0]
	v_fmamk_f32 v10, v58, 0x3f5db3d7, v1
	v_fmac_f32_e32 v1, 0xbf5db3d7, v58
	v_fmamk_f32 v46, v59, 0xbf5db3d7, v0
	v_pk_add_f32 v[60:61], v[8:9], v[56:57]
	v_pk_add_f32 v[8:9], v[8:9], v[56:57] neg_lo:[0,1] neg_hi:[0,1]
	v_pk_mul_f32 v[10:11], v[10:11], s[2:3] op_sel_hi:[0,1]
	v_mov_b32_e32 v56, v38
	v_mov_b32_e32 v38, v1
	v_fmac_f32_e32 v0, 0x3f5db3d7, v59
	v_mov_b32_e32 v57, v3
	v_mov_b32_e32 v3, v39
	v_pk_fma_f32 v[58:59], v[46:47], s[8:9], v[10:11] neg_lo:[0,0,1] neg_hi:[0,0,1]
	v_pk_fma_f32 v[10:11], v[46:47], s[8:9], v[10:11] op_sel_hi:[0,1,1]
	v_pk_mul_f32 v[38:39], v[38:39], s[2:3] op_sel_hi:[0,1]
	v_mov_b32_e32 v59, v11
	v_pk_fma_f32 v[0:1], v[0:1], s[10:11], v[38:39] op_sel_hi:[0,1,1] neg_lo:[0,0,1] neg_hi:[0,0,1]
	v_pk_add_f32 v[10:11], v[56:57], v[58:59]
	v_pk_add_f32 v[38:39], v[2:3], v[0:1]
	v_pk_add_f32 v[56:57], v[56:57], v[58:59] neg_lo:[0,1] neg_hi:[0,1]
	v_pk_add_f32 v[0:1], v[2:3], v[0:1] neg_lo:[0,1] neg_hi:[0,1]
	s_waitcnt lgkmcnt(0)
	; wave barrier
	ds_write2_b64 v51, v[60:61], v[10:11] offset1:3
	ds_write2_b64 v51, v[38:39], v[8:9] offset0:6 offset1:9
	ds_write2_b64 v51, v[56:57], v[0:1] offset0:12 offset1:15
	s_waitcnt lgkmcnt(0)
	; wave barrier
	s_waitcnt lgkmcnt(0)
	ds_read2_b64 v[0:3], v49 offset0:88 offset1:142
	ds_read2_b64 v[8:11], v47 offset0:108 offset1:162
	ds_read2_b64 v[56:59], v47 offset1:54
	s_waitcnt lgkmcnt(0)
	; wave barrier
	s_waitcnt lgkmcnt(0)
	v_pk_mul_f32 v[38:39], v[40:41], v[2:3] op_sel:[1,0]
	v_pk_mul_f32 v[50:51], v[44:45], v[0:1] op_sel_hi:[0,1]
	v_pk_mul_f32 v[60:61], v[4:5], v[10:11] op_sel:[1,0]
	v_pk_mul_f32 v[62:63], v[42:43], v[8:9] op_sel_hi:[0,1]
	v_pk_mul_f32 v[64:65], v[12:13], v[58:59] op_sel:[1,0]
	v_pk_fma_f32 v[66:67], v[40:41], v[2:3], v[38:39] op_sel:[0,0,1] op_sel_hi:[1,1,0]
	v_pk_fma_f32 v[2:3], v[40:41], v[2:3], v[38:39] op_sel:[0,0,1] op_sel_hi:[0,1,0] neg_lo:[0,0,1] neg_hi:[0,0,1]
	v_pk_fma_f32 v[38:39], v[6:7], v[0:1], v[50:51] op_sel:[0,0,1] op_sel_hi:[1,1,0]
	v_pk_fma_f32 v[0:1], v[6:7], v[0:1], v[50:51] op_sel:[0,0,1] op_sel_hi:[0,1,0] neg_lo:[0,0,1] neg_hi:[0,0,1]
	;; [unrolled: 2-line block ×5, first 2 shown]
	v_mov_b32_e32 v7, v5
	v_mov_b32_e32 v67, v3
	;; [unrolled: 1-line block ×5, first 2 shown]
	v_pk_add_f32 v[4:5], v[6:7], v[66:67]
	v_pk_add_f32 v[0:1], v[56:57], v[10:11]
	;; [unrolled: 1-line block ×3, first 2 shown]
	v_mov_b32_e32 v8, v14
	v_pk_add_f32 v[14:15], v[14:15], v[6:7]
	v_pk_add_f32 v[6:7], v[6:7], v[66:67] neg_lo:[0,1] neg_hi:[0,1]
	v_fmac_f32_e32 v13, -0.5, v5
	v_pk_add_f32 v[10:11], v[10:11], v[38:39] neg_lo:[0,1] neg_hi:[0,1]
	v_pk_fma_f32 v[2:3], v[2:3], 0.5, v[56:57] op_sel_hi:[1,0,1] neg_lo:[1,0,0] neg_hi:[1,0,0]
	v_fmamk_f32 v12, v6, 0x3f5db3d7, v13
	v_pk_mul_f32 v[10:11], v[10:11], s[2:3] op_sel_hi:[1,0]
	v_pk_add_f32 v[0:1], v[0:1], v[38:39]
	v_fmac_f32_e32 v8, -0.5, v4
	v_pk_add_f32 v[38:39], v[2:3], v[10:11] op_sel:[0,1] op_sel_hi:[1,0] neg_lo:[0,1] neg_hi:[0,1]
	v_pk_add_f32 v[2:3], v[2:3], v[10:11] op_sel:[0,1] op_sel_hi:[1,0]
	v_pk_mul_f32 v[10:11], v[12:13], s[2:3] op_sel_hi:[0,1]
	v_fmac_f32_e32 v13, 0xbf5db3d7, v6
	v_fmamk_f32 v4, v7, 0xbf5db3d7, v8
	v_mov_b32_e32 v6, v13
	v_pk_fma_f32 v[40:41], v[4:5], s[8:9], v[10:11] neg_lo:[0,0,1] neg_hi:[0,0,1]
	v_pk_fma_f32 v[4:5], v[4:5], s[8:9], v[10:11] op_sel_hi:[0,1,1]
	v_fmac_f32_e32 v8, 0x3f5db3d7, v7
	v_pk_mul_f32 v[6:7], v[6:7], s[2:3] op_sel_hi:[0,1]
	v_pk_add_f32 v[14:15], v[14:15], v[66:67]
	v_mov_b32_e32 v41, v5
	v_mov_b32_e32 v5, v3
	v_pk_fma_f32 v[6:7], v[8:9], s[10:11], v[6:7] op_sel_hi:[0,1,1] neg_lo:[0,0,1] neg_hi:[0,0,1]
	v_mov_b32_e32 v3, v39
	v_pk_add_f32 v[10:11], v[0:1], v[14:15]
	v_mov_b32_e32 v4, v38
	v_pk_add_f32 v[8:9], v[2:3], v[6:7]
	v_pk_add_f32 v[0:1], v[0:1], v[14:15] neg_lo:[0,1] neg_hi:[0,1]
	v_pk_add_f32 v[50:51], v[4:5], v[40:41]
	ds_write2_b64 v55, v[8:9], v[0:1] offset0:36 offset1:54
	v_pk_add_f32 v[0:1], v[4:5], v[40:41] neg_lo:[0,1] neg_hi:[0,1]
	v_pk_add_f32 v[2:3], v[2:3], v[6:7] neg_lo:[0,1] neg_hi:[0,1]
	ds_write2_b64 v55, v[10:11], v[50:51] offset1:18
	ds_write2_b64 v55, v[0:1], v[2:3] offset0:72 offset1:90
	s_waitcnt lgkmcnt(0)
	; wave barrier
	s_waitcnt lgkmcnt(0)
	ds_read2_b64 v[0:3], v47 offset0:108 offset1:162
	ds_read2_b64 v[4:7], v47 offset1:54
	ds_read2_b64 v[8:11], v49 offset0:88 offset1:142
	v_mov_b32_e32 v50, s0
	v_mov_b32_e32 v51, s1
	v_mad_u64_u32 v[12:13], s[0:1], s6, v24, 0
	s_waitcnt lgkmcnt(2)
	v_pk_mul_f32 v[14:15], v[16:17], v[0:1] op_sel:[1,0]
	s_mul_i32 s6, s5, 0x360
	v_pk_fma_f32 v[38:39], v[16:17], v[0:1], v[14:15] op_sel:[0,0,1] op_sel_hi:[1,1,0]
	v_pk_fma_f32 v[0:1], v[16:17], v[0:1], v[14:15] op_sel:[0,0,1] op_sel_hi:[0,1,0] neg_lo:[0,0,1] neg_hi:[0,0,1]
	v_mov_b32_e32 v39, v1
	s_waitcnt lgkmcnt(0)
	v_pk_mul_f32 v[0:1], v[52:53], v[8:9] op_sel_hi:[0,1]
	v_pk_fma_f32 v[14:15], v[18:19], v[8:9], v[0:1] op_sel:[0,0,1] op_sel_hi:[1,1,0]
	v_pk_fma_f32 v[0:1], v[18:19], v[8:9], v[0:1] op_sel:[0,0,1] op_sel_hi:[0,1,0] neg_lo:[0,0,1] neg_hi:[0,0,1]
	v_pk_mul_f32 v[8:9], v[20:21], v[2:3] op_sel:[1,0]
	v_mov_b32_e32 v15, v1
	v_pk_fma_f32 v[16:17], v[20:21], v[2:3], v[8:9] op_sel:[0,0,1] op_sel_hi:[1,1,0]
	v_pk_fma_f32 v[2:3], v[20:21], v[2:3], v[8:9] op_sel:[0,0,1] op_sel_hi:[0,1,0] neg_lo:[0,0,1] neg_hi:[0,0,1]
	v_mov_b32_e32 v17, v3
	v_pk_mul_f32 v[2:3], v[48:49], v[10:11] op_sel_hi:[0,1]
	v_pk_fma_f32 v[8:9], v[22:23], v[10:11], v[2:3] op_sel:[0,0,1] op_sel_hi:[1,1,0]
	v_pk_fma_f32 v[2:3], v[22:23], v[10:11], v[2:3] op_sel:[0,0,1] op_sel_hi:[0,1,0] neg_lo:[0,0,1] neg_hi:[0,0,1]
	v_pk_add_f32 v[10:11], v[38:39], v[14:15]
	v_pk_add_f32 v[0:1], v[4:5], v[38:39]
	v_pk_fma_f32 v[4:5], v[10:11], 0.5, v[4:5] op_sel_hi:[1,0,1] neg_lo:[1,0,0] neg_hi:[1,0,0]
	v_pk_add_f32 v[10:11], v[38:39], v[14:15] neg_lo:[0,1] neg_hi:[0,1]
	v_pk_add_f32 v[0:1], v[0:1], v[14:15]
	v_pk_mul_f32 v[10:11], v[10:11], s[2:3] op_sel_hi:[1,0]
	v_mov_b32_e32 v9, v3
	v_pk_add_f32 v[2:3], v[6:7], v[16:17]
	v_pk_add_f32 v[14:15], v[4:5], v[10:11] op_sel:[0,1] op_sel_hi:[1,0] neg_lo:[0,1] neg_hi:[0,1]
	v_pk_add_f32 v[4:5], v[4:5], v[10:11] op_sel:[0,1] op_sel_hi:[1,0]
	v_pk_add_f32 v[2:3], v[2:3], v[8:9]
	v_mov_b32_e32 v10, v14
	v_mov_b32_e32 v11, v5
	v_mov_b32_e32 v5, v15
	ds_write_b64 v47, v[10:11] offset:864
	ds_write_b64 v47, v[4:5] offset:1728
	ds_write2_b64 v47, v[0:1], v[2:3] offset1:54
	v_pk_add_f32 v[0:1], v[16:17], v[8:9]
	v_pk_add_f32 v[2:3], v[16:17], v[8:9] neg_lo:[0,1] neg_hi:[0,1]
	v_pk_fma_f32 v[0:1], v[0:1], 0.5, v[6:7] op_sel_hi:[1,0,1] neg_lo:[1,0,0] neg_hi:[1,0,0]
	v_pk_mul_f32 v[2:3], v[2:3], s[2:3] op_sel_hi:[1,0]
	s_nop 0
	v_pk_add_f32 v[4:5], v[0:1], v[2:3] op_sel:[0,1] op_sel_hi:[1,0] neg_lo:[0,1] neg_hi:[0,1]
	v_pk_add_f32 v[0:1], v[0:1], v[2:3] op_sel:[0,1] op_sel_hi:[1,0]
	v_mov_b32_e32 v2, v4
	v_mov_b32_e32 v3, v1
	;; [unrolled: 1-line block ×3, first 2 shown]
	ds_write_b64 v47, v[2:3] offset:1296
	ds_write_b64 v47, v[0:1] offset:2160
	s_waitcnt lgkmcnt(0)
	; wave barrier
	s_waitcnt lgkmcnt(0)
	ds_read2_b64 v[0:3], v47 offset1:54
	v_mov_b32_e32 v4, v13
	v_mad_u64_u32 v[4:5], s[0:1], s7, v24, v[4:5]
	v_mov_b32_e32 v13, v4
	s_waitcnt lgkmcnt(0)
	v_mul_f32_e32 v4, v35, v1
	v_fmac_f32_e32 v4, v34, v0
	v_mul_f32_e32 v0, v35, v0
	s_mov_b32 s0, 0xfcd6e9e0
	v_fma_f32 v0, v34, v1, -v0
	s_mov_b32 s1, 0x3f6948b0
	v_cvt_f64_f32_e32 v[0:1], v0
	v_cvt_f64_f32_e32 v[4:5], v4
	v_mul_f64 v[0:1], v[0:1], s[0:1]
	v_mul_f64 v[4:5], v[4:5], s[0:1]
	v_cvt_f32_f64_e32 v9, v[0:1]
	v_mad_u64_u32 v[0:1], s[2:3], s4, v45, 0
	v_cvt_f32_f64_e32 v8, v[4:5]
	v_mov_b32_e32 v4, v1
	v_mad_u64_u32 v[10:11], s[2:3], s5, v45, v[4:5]
	ds_read2_b64 v[4:7], v47 offset0:108 offset1:162
	v_mov_b32_e32 v1, v10
	v_lshl_add_u64 v[10:11], v[12:13], 3, v[50:51]
	v_lshl_add_u64 v[0:1], v[0:1], 3, v[10:11]
	global_store_dwordx2 v[0:1], v[8:9], off
	s_waitcnt lgkmcnt(0)
	v_mul_f32_e32 v8, v37, v5
	v_fmac_f32_e32 v8, v36, v4
	v_cvt_f64_f32_e32 v[8:9], v8
	v_mul_f64 v[8:9], v[8:9], s[0:1]
	v_cvt_f32_f64_e32 v12, v[8:9]
	ds_read2_b64 v[8:11], v49 offset0:88 offset1:142
	v_mul_f32_e32 v4, v37, v4
	v_fma_f32 v4, v36, v5, -v4
	v_cvt_f64_f32_e32 v[4:5], v4
	v_mul_f64 v[4:5], v[4:5], s[0:1]
	v_cvt_f32_f64_e32 v13, v[4:5]
	s_waitcnt lgkmcnt(0)
	v_mul_f32_e32 v4, v31, v9
	v_fmac_f32_e32 v4, v30, v8
	v_cvt_f64_f32_e32 v[4:5], v4
	v_mul_f64 v[4:5], v[4:5], s[0:1]
	v_cvt_f32_f64_e32 v4, v[4:5]
	v_mul_f32_e32 v5, v31, v8
	v_mad_u64_u32 v[0:1], s[2:3], s4, v25, v[0:1]
	v_fma_f32 v5, v30, v9, -v5
	v_add_u32_e32 v1, s6, v1
	v_cvt_f64_f32_e32 v[8:9], v5
	global_store_dwordx2 v[0:1], v[12:13], off
	v_mul_f64 v[8:9], v[8:9], s[0:1]
	v_mad_u64_u32 v[0:1], s[2:3], s4, v25, v[0:1]
	v_cvt_f32_f64_e32 v5, v[8:9]
	v_add_u32_e32 v1, s6, v1
	global_store_dwordx2 v[0:1], v[4:5], off
	v_mul_f32_e32 v4, v33, v3
	v_fmac_f32_e32 v4, v32, v2
	v_mul_f32_e32 v2, v33, v2
	v_fma_f32 v2, v32, v3, -v2
	v_cvt_f64_f32_e32 v[4:5], v4
	v_cvt_f64_f32_e32 v[2:3], v2
	v_mul_f64 v[4:5], v[4:5], s[0:1]
	v_mul_f64 v[2:3], v[2:3], s[0:1]
	v_cvt_f32_f64_e32 v4, v[4:5]
	v_cvt_f32_f64_e32 v5, v[2:3]
	v_mul_f32_e32 v2, v27, v7
	v_fmac_f32_e32 v2, v26, v6
	v_mad_u64_u32 v[0:1], s[2:3], s4, v43, v[0:1]
	v_cvt_f64_f32_e32 v[2:3], v2
	s_mul_i32 s2, s5, 0xfffffaf0
	v_mul_f64 v[2:3], v[2:3], s[0:1]
	s_sub_i32 s2, s2, s4
	v_cvt_f32_f64_e32 v2, v[2:3]
	v_mul_f32_e32 v3, v27, v6
	v_add_u32_e32 v1, s2, v1
	v_fma_f32 v3, v26, v7, -v3
	global_store_dwordx2 v[0:1], v[4:5], off
	v_cvt_f64_f32_e32 v[4:5], v3
	v_mul_f64 v[4:5], v[4:5], s[0:1]
	v_mad_u64_u32 v[0:1], s[2:3], s4, v25, v[0:1]
	v_cvt_f32_f64_e32 v3, v[4:5]
	v_add_u32_e32 v1, s6, v1
	global_store_dwordx2 v[0:1], v[2:3], off
	v_mul_f32_e32 v2, v29, v11
	v_fmac_f32_e32 v2, v28, v10
	v_cvt_f64_f32_e32 v[2:3], v2
	v_mul_f64 v[2:3], v[2:3], s[0:1]
	v_cvt_f32_f64_e32 v2, v[2:3]
	v_mul_f32_e32 v3, v29, v10
	v_fma_f32 v3, v28, v11, -v3
	v_cvt_f64_f32_e32 v[4:5], v3
	v_mul_f64 v[4:5], v[4:5], s[0:1]
	v_mad_u64_u32 v[0:1], s[0:1], s4, v25, v[0:1]
	v_cvt_f32_f64_e32 v3, v[4:5]
	v_add_u32_e32 v1, s6, v1
	global_store_dwordx2 v[0:1], v[2:3], off
.LBB0_2:
	s_endpgm
	.section	.rodata,"a",@progbits
	.p2align	6, 0x0
	.amdhsa_kernel bluestein_single_back_len324_dim1_sp_op_CI_CI
		.amdhsa_group_segment_fixed_size 2592
		.amdhsa_private_segment_fixed_size 0
		.amdhsa_kernarg_size 104
		.amdhsa_user_sgpr_count 2
		.amdhsa_user_sgpr_dispatch_ptr 0
		.amdhsa_user_sgpr_queue_ptr 0
		.amdhsa_user_sgpr_kernarg_segment_ptr 1
		.amdhsa_user_sgpr_dispatch_id 0
		.amdhsa_user_sgpr_kernarg_preload_length 0
		.amdhsa_user_sgpr_kernarg_preload_offset 0
		.amdhsa_user_sgpr_private_segment_size 0
		.amdhsa_uses_dynamic_stack 0
		.amdhsa_enable_private_segment 0
		.amdhsa_system_sgpr_workgroup_id_x 1
		.amdhsa_system_sgpr_workgroup_id_y 0
		.amdhsa_system_sgpr_workgroup_id_z 0
		.amdhsa_system_sgpr_workgroup_info 0
		.amdhsa_system_vgpr_workitem_id 0
		.amdhsa_next_free_vgpr 76
		.amdhsa_next_free_sgpr 16
		.amdhsa_accum_offset 76
		.amdhsa_reserve_vcc 1
		.amdhsa_float_round_mode_32 0
		.amdhsa_float_round_mode_16_64 0
		.amdhsa_float_denorm_mode_32 3
		.amdhsa_float_denorm_mode_16_64 3
		.amdhsa_dx10_clamp 1
		.amdhsa_ieee_mode 1
		.amdhsa_fp16_overflow 0
		.amdhsa_tg_split 0
		.amdhsa_exception_fp_ieee_invalid_op 0
		.amdhsa_exception_fp_denorm_src 0
		.amdhsa_exception_fp_ieee_div_zero 0
		.amdhsa_exception_fp_ieee_overflow 0
		.amdhsa_exception_fp_ieee_underflow 0
		.amdhsa_exception_fp_ieee_inexact 0
		.amdhsa_exception_int_div_zero 0
	.end_amdhsa_kernel
	.text
.Lfunc_end0:
	.size	bluestein_single_back_len324_dim1_sp_op_CI_CI, .Lfunc_end0-bluestein_single_back_len324_dim1_sp_op_CI_CI
                                        ; -- End function
	.section	.AMDGPU.csdata,"",@progbits
; Kernel info:
; codeLenInByte = 4624
; NumSgprs: 22
; NumVgprs: 76
; NumAgprs: 0
; TotalNumVgprs: 76
; ScratchSize: 0
; MemoryBound: 0
; FloatMode: 240
; IeeeMode: 1
; LDSByteSize: 2592 bytes/workgroup (compile time only)
; SGPRBlocks: 2
; VGPRBlocks: 9
; NumSGPRsForWavesPerEU: 22
; NumVGPRsForWavesPerEU: 76
; AccumOffset: 76
; Occupancy: 6
; WaveLimiterHint : 1
; COMPUTE_PGM_RSRC2:SCRATCH_EN: 0
; COMPUTE_PGM_RSRC2:USER_SGPR: 2
; COMPUTE_PGM_RSRC2:TRAP_HANDLER: 0
; COMPUTE_PGM_RSRC2:TGID_X_EN: 1
; COMPUTE_PGM_RSRC2:TGID_Y_EN: 0
; COMPUTE_PGM_RSRC2:TGID_Z_EN: 0
; COMPUTE_PGM_RSRC2:TIDIG_COMP_CNT: 0
; COMPUTE_PGM_RSRC3_GFX90A:ACCUM_OFFSET: 18
; COMPUTE_PGM_RSRC3_GFX90A:TG_SPLIT: 0
	.text
	.p2alignl 6, 3212836864
	.fill 256, 4, 3212836864
	.type	__hip_cuid_a475adea09e53a35,@object ; @__hip_cuid_a475adea09e53a35
	.section	.bss,"aw",@nobits
	.globl	__hip_cuid_a475adea09e53a35
__hip_cuid_a475adea09e53a35:
	.byte	0                               ; 0x0
	.size	__hip_cuid_a475adea09e53a35, 1

	.ident	"AMD clang version 19.0.0git (https://github.com/RadeonOpenCompute/llvm-project roc-6.4.0 25133 c7fe45cf4b819c5991fe208aaa96edf142730f1d)"
	.section	".note.GNU-stack","",@progbits
	.addrsig
	.addrsig_sym __hip_cuid_a475adea09e53a35
	.amdgpu_metadata
---
amdhsa.kernels:
  - .agpr_count:     0
    .args:
      - .actual_access:  read_only
        .address_space:  global
        .offset:         0
        .size:           8
        .value_kind:     global_buffer
      - .actual_access:  read_only
        .address_space:  global
        .offset:         8
        .size:           8
        .value_kind:     global_buffer
      - .actual_access:  read_only
        .address_space:  global
        .offset:         16
        .size:           8
        .value_kind:     global_buffer
      - .actual_access:  read_only
        .address_space:  global
        .offset:         24
        .size:           8
        .value_kind:     global_buffer
      - .actual_access:  read_only
        .address_space:  global
        .offset:         32
        .size:           8
        .value_kind:     global_buffer
      - .offset:         40
        .size:           8
        .value_kind:     by_value
      - .address_space:  global
        .offset:         48
        .size:           8
        .value_kind:     global_buffer
      - .address_space:  global
        .offset:         56
        .size:           8
        .value_kind:     global_buffer
      - .address_space:  global
        .offset:         64
        .size:           8
        .value_kind:     global_buffer
      - .address_space:  global
        .offset:         72
        .size:           8
        .value_kind:     global_buffer
      - .offset:         80
        .size:           4
        .value_kind:     by_value
      - .address_space:  global
        .offset:         88
        .size:           8
        .value_kind:     global_buffer
      - .address_space:  global
        .offset:         96
        .size:           8
        .value_kind:     global_buffer
    .group_segment_fixed_size: 2592
    .kernarg_segment_align: 8
    .kernarg_segment_size: 104
    .language:       OpenCL C
    .language_version:
      - 2
      - 0
    .max_flat_workgroup_size: 54
    .name:           bluestein_single_back_len324_dim1_sp_op_CI_CI
    .private_segment_fixed_size: 0
    .sgpr_count:     22
    .sgpr_spill_count: 0
    .symbol:         bluestein_single_back_len324_dim1_sp_op_CI_CI.kd
    .uniform_work_group_size: 1
    .uses_dynamic_stack: false
    .vgpr_count:     76
    .vgpr_spill_count: 0
    .wavefront_size: 64
amdhsa.target:   amdgcn-amd-amdhsa--gfx950
amdhsa.version:
  - 1
  - 2
...

	.end_amdgpu_metadata
